;; amdgpu-corpus repo=zjin-lcf/HeCBench kind=compiled arch=gfx1250 opt=O3
	.amdgcn_target "amdgcn-amd-amdhsa--gfx1250"
	.amdhsa_code_object_version 6
	.text
	.protected	_Z15PTTWAC_soa_astaiiiPfPiS0_ ; -- Begin function _Z15PTTWAC_soa_astaiiiPfPiS0_
	.globl	_Z15PTTWAC_soa_astaiiiPfPiS0_
	.p2align	8
	.type	_Z15PTTWAC_soa_astaiiiPfPiS0_,@function
_Z15PTTWAC_soa_astaiiiPfPiS0_:          ; @_Z15PTTWAC_soa_astaiiiPfPiS0_
; %bb.0:
	s_clause 0x1
	s_load_b128 s[8:11], s[0:1], 0x10
	s_load_b64 s[6:7], s[0:1], 0x20
	v_cmp_eq_u32_e64 s2, 0, v0
	s_and_saveexec_b32 s3, s2
	s_cbranch_execz .LBB0_4
; %bb.1:
	s_mov_b32 s5, exec_lo
	s_mov_b32 s4, exec_lo
	v_mbcnt_lo_u32_b32 v1, s5, 0
                                        ; implicit-def: $vgpr2
	s_delay_alu instid0(VALU_DEP_1)
	v_cmpx_eq_u32_e32 0, v1
	s_cbranch_execz .LBB0_3
; %bb.2:
	s_bcnt1_i32_b32 s5, s5
	s_delay_alu instid0(SALU_CYCLE_1)
	v_dual_mov_b32 v2, 0 :: v_dual_mov_b32 v3, s5
	s_wait_xcnt 0x0
	s_wait_kmcnt 0x0
	global_atomic_add_u32 v2, v2, v3, s[6:7] th:TH_ATOMIC_RETURN scope:SCOPE_DEV
.LBB0_3:
	s_wait_xcnt 0x0
	s_or_b32 exec_lo, exec_lo, s4
	s_wait_loadcnt 0x0
	v_readfirstlane_b32 s4, v2
	s_delay_alu instid0(VALU_DEP_1)
	v_dual_mov_b32 v2, 0 :: v_dual_add_nc_u32 v1, s4, v1
	ds_store_b32 v2, v1 offset:4
.LBB0_4:
	s_or_b32 exec_lo, exec_lo, s3
	v_mov_b32_e32 v1, 0
	s_load_b96 s[12:14], s[0:1], 0x0
	s_wait_dscnt 0x0
	s_barrier_signal -1
	s_barrier_wait -1
	ds_load_b32 v2, v1 offset:4
	s_wait_kmcnt 0x0
	s_mul_i32 s15, s13, s12
	s_delay_alu instid0(SALU_CYCLE_1)
	s_add_co_i32 s15, s15, -1
	s_wait_dscnt 0x0
	v_cmp_le_i32_e32 vcc_lo, s15, v2
	v_readfirstlane_b32 s5, v2
	s_cbranch_vccnz .LBB0_53
; %bb.5:
	s_abs_i32 s22, s13
	s_add_nc_u64 s[16:17], s[0:1], 40
	s_cvt_f32_u32 s3, s22
	s_sub_co_i32 s0, 0, s22
	s_mov_b32 s19, 0
	s_ashr_i32 s13, s13, 31
	v_rcp_iflag_f32_e32 v2, s3
	s_mov_b32 s21, s19
                                        ; implicit-def: $vgpr3
                                        ; implicit-def: $vgpr4
                                        ; implicit-def: $vgpr5
                                        ; implicit-def: $vgpr6
	v_nop
	s_delay_alu instid0(TRANS32_DEP_1) | instskip(SKIP_3) | instid1(SALU_CYCLE_2)
	v_readfirstlane_b32 s3, v2
	v_mov_b32_e32 v2, 1
	s_mul_f32 s4, s3, 0x4f7ffffe
	v_cmp_gt_i32_e64 s3, s14, v0
	s_cvt_u32_f32 s4, s4
	s_delay_alu instid0(SALU_CYCLE_3) | instskip(NEXT) | instid1(SALU_CYCLE_1)
	s_mul_i32 s0, s0, s4
	s_mul_hi_u32 s0, s4, s0
	s_delay_alu instid0(SALU_CYCLE_1)
	s_add_co_i32 s20, s4, s0
	s_branch .LBB0_9
.LBB0_6:                                ;   in Loop: Header=BB0_9 Depth=1
	s_wait_xcnt 0x0
	s_or_b32 exec_lo, exec_lo, s1
	s_wait_loadcnt 0x0
	v_readfirstlane_b32 s1, v8
	s_delay_alu instid0(VALU_DEP_1)
	v_add_nc_u32_e32 v7, s1, v7
	ds_store_b32 v1, v7 offset:4
.LBB0_7:                                ;   in Loop: Header=BB0_9 Depth=1
	s_or_b32 exec_lo, exec_lo, s0
	v_dual_mov_b32 v10, v3 :: v_dual_mov_b32 v9, v4
	v_dual_mov_b32 v8, v5 :: v_dual_mov_b32 v7, v6
	s_wait_dscnt 0x0
	s_barrier_signal -1
	s_barrier_wait -1
.LBB0_8:                                ;   in Loop: Header=BB0_9 Depth=1
	ds_load_b32 v3, v1 offset:4
	v_dual_mov_b32 v5, v8 :: v_dual_mov_b32 v6, v7
	v_mov_b32_e32 v4, v9
	s_wait_dscnt 0x0
	v_cmp_gt_i32_e32 vcc_lo, s15, v3
	v_readfirstlane_b32 s5, v3
	v_mov_b32_e32 v3, v10
	s_cbranch_vccz .LBB0_53
.LBB0_9:                                ; =>This Loop Header: Depth=1
                                        ;     Child Loop BB0_34 Depth 2
	s_abs_i32 s18, s5
                                        ; implicit-def: $vgpr10
                                        ; implicit-def: $vgpr9
                                        ; implicit-def: $vgpr8
                                        ; implicit-def: $vgpr7
	s_delay_alu instid0(SALU_CYCLE_1)
	s_mul_u64 s[0:1], s[18:19], s[20:21]
	s_ashr_i32 s0, s5, 31
	s_mul_i32 s4, s1, s22
	s_xor_b32 s0, s0, s13
	s_sub_co_i32 s4, s18, s4
	s_add_co_i32 s18, s1, 1
	s_sub_co_i32 s23, s4, s22
	s_cmp_ge_u32 s4, s22
	s_cselect_b32 s1, s18, s1
	s_cselect_b32 s4, s23, s4
	s_add_co_i32 s18, s1, 1
	s_cmp_ge_u32 s4, s22
	s_cselect_b32 s1, s18, s1
	s_delay_alu instid0(SALU_CYCLE_1) | instskip(NEXT) | instid1(SALU_CYCLE_1)
	s_xor_b32 s1, s1, s0
	s_sub_co_i32 s0, s1, s0
	s_mul_i32 s1, s5, s12
	s_mul_i32 s0, s0, s15
	s_delay_alu instid0(SALU_CYCLE_1)
	s_sub_co_i32 s23, s1, s0
	s_mov_b32 s0, -1
	s_cmp_lg_u32 s23, s5
	s_cbranch_scc0 .LBB0_28
; %bb.10:                               ;   in Loop: Header=BB0_9 Depth=1
	v_mov_b32_e32 v7, v6
	s_and_saveexec_b32 s0, s3
	s_cbranch_execz .LBB0_12
; %bb.11:                               ;   in Loop: Header=BB0_9 Depth=1
	v_mad_u32 v7, s5, s14, v0
	global_load_b32 v7, v7, s[8:9] scale_offset
.LBB0_12:                               ;   in Loop: Header=BB0_9 Depth=1
	s_wait_xcnt 0x0
	s_or_b32 exec_lo, exec_lo, s0
	s_load_b32 s0, s[16:17], 0xc
	v_mov_b32_e32 v8, v5
	s_wait_kmcnt 0x0
	s_and_b32 s4, s0, 0xffff
	s_delay_alu instid0(SALU_CYCLE_1) | instskip(NEXT) | instid1(VALU_DEP_1)
	v_add_nc_u32_e32 v11, s4, v0
	v_cmp_gt_i32_e64 s0, s14, v11
	s_and_saveexec_b32 s1, s0
	s_cbranch_execz .LBB0_14
; %bb.13:                               ;   in Loop: Header=BB0_9 Depth=1
	v_mad_u32 v8, s5, s14, v11
	global_load_b32 v8, v8, s[8:9] scale_offset
.LBB0_14:                               ;   in Loop: Header=BB0_9 Depth=1
	s_wait_xcnt 0x0
	s_or_b32 exec_lo, exec_lo, s1
	v_dual_mov_b32 v9, v4 :: v_dual_add_nc_u32 v12, s4, v11
	s_delay_alu instid0(VALU_DEP_1)
	v_cmp_gt_i32_e64 s1, s14, v12
	s_and_saveexec_b32 s18, s1
	s_cbranch_execz .LBB0_16
; %bb.15:                               ;   in Loop: Header=BB0_9 Depth=1
	v_mad_u32 v9, s5, s14, v12
	global_load_b32 v9, v9, s[8:9] scale_offset
.LBB0_16:                               ;   in Loop: Header=BB0_9 Depth=1
	s_wait_xcnt 0x0
	s_or_b32 exec_lo, exec_lo, s18
	v_dual_mov_b32 v10, v3 :: v_dual_add_nc_u32 v13, s4, v12
	s_delay_alu instid0(VALU_DEP_1)
	v_cmp_gt_i32_e64 s4, s14, v13
	s_and_saveexec_b32 s18, s4
	s_cbranch_execz .LBB0_18
; %bb.17:                               ;   in Loop: Header=BB0_9 Depth=1
	v_mad_u32 v10, s5, s14, v13
	global_load_b32 v10, v10, s[8:9] scale_offset
.LBB0_18:                               ;   in Loop: Header=BB0_9 Depth=1
	s_wait_xcnt 0x0
	s_or_b32 exec_lo, exec_lo, s18
	s_and_saveexec_b32 s18, s2
	s_cbranch_execz .LBB0_22
; %bb.19:                               ;   in Loop: Header=BB0_9 Depth=1
	v_mbcnt_lo_u32_b32 v14, exec_lo, 0
	s_delay_alu instid0(VALU_DEP_1)
	v_cmp_eq_u32_e32 vcc_lo, 0, v14
                                        ; implicit-def: $vgpr14
	s_and_saveexec_b32 s24, vcc_lo
	s_cbranch_execz .LBB0_21
; %bb.20:                               ;   in Loop: Header=BB0_9 Depth=1
	v_mov_b32_e32 v14, s5
	global_load_b32 v14, v14, s[10:11] scale_offset scope:SCOPE_DEV
.LBB0_21:                               ;   in Loop: Header=BB0_9 Depth=1
	s_wait_xcnt 0x0
	s_or_b32 exec_lo, exec_lo, s24
	s_wait_loadcnt 0x0
	v_readfirstlane_b32 s5, v14
	s_delay_alu instid0(VALU_DEP_1)
	v_mov_b32_e32 v14, s5
	ds_store_b32 v1, v14
.LBB0_22:                               ;   in Loop: Header=BB0_9 Depth=1
	s_or_b32 exec_lo, exec_lo, s18
	s_wait_loadcnt_dscnt 0x0
	s_barrier_signal -1
	s_barrier_wait -1
	ds_load_b32 v14, v1
	s_wait_dscnt 0x0
	v_cmp_ne_u32_e32 vcc_lo, 0, v14
	s_cbranch_vccz .LBB0_34
.LBB0_23:                               ;   in Loop: Header=BB0_9 Depth=1
	s_and_saveexec_b32 s0, s2
	s_cbranch_execz .LBB0_27
; %bb.24:                               ;   in Loop: Header=BB0_9 Depth=1
	s_mov_b32 s4, exec_lo
	s_mov_b32 s1, exec_lo
	v_mbcnt_lo_u32_b32 v11, s4, 0
                                        ; implicit-def: $vgpr12
	s_delay_alu instid0(VALU_DEP_1)
	v_cmpx_eq_u32_e32 0, v11
	s_cbranch_execz .LBB0_26
; %bb.25:                               ;   in Loop: Header=BB0_9 Depth=1
	s_bcnt1_i32_b32 s4, s4
	s_delay_alu instid0(SALU_CYCLE_1)
	v_mov_b32_e32 v12, s4
	global_atomic_add_u32 v12, v1, v12, s[6:7] th:TH_ATOMIC_RETURN scope:SCOPE_DEV
.LBB0_26:                               ;   in Loop: Header=BB0_9 Depth=1
	s_wait_xcnt 0x0
	s_or_b32 exec_lo, exec_lo, s1
	s_wait_loadcnt 0x0
	v_readfirstlane_b32 s1, v12
	s_delay_alu instid0(VALU_DEP_1)
	v_add_nc_u32_e32 v11, s1, v11
	ds_store_b32 v1, v11 offset:4
.LBB0_27:                               ;   in Loop: Header=BB0_9 Depth=1
	s_or_b32 exec_lo, exec_lo, s0
	s_mov_b32 s0, 0
	s_wait_storecnt_dscnt 0x0
	s_barrier_signal -1
	s_barrier_wait -1
.LBB0_28:                               ;   in Loop: Header=BB0_9 Depth=1
	s_and_b32 vcc_lo, exec_lo, s0
	s_cbranch_vccz .LBB0_8
; %bb.29:                               ;   in Loop: Header=BB0_9 Depth=1
	s_barrier_signal -1
	s_barrier_wait -1
	s_and_saveexec_b32 s0, s2
	s_cbranch_execz .LBB0_7
; %bb.30:                               ;   in Loop: Header=BB0_9 Depth=1
	s_mov_b32 s4, exec_lo
	s_mov_b32 s1, exec_lo
	v_mbcnt_lo_u32_b32 v7, s4, 0
                                        ; implicit-def: $vgpr8
	s_delay_alu instid0(VALU_DEP_1)
	v_cmpx_eq_u32_e32 0, v7
	s_cbranch_execz .LBB0_6
; %bb.31:                               ;   in Loop: Header=BB0_9 Depth=1
	s_bcnt1_i32_b32 s4, s4
	s_delay_alu instid0(SALU_CYCLE_1)
	v_mov_b32_e32 v8, s4
	global_atomic_add_u32 v8, v1, v8, s[6:7] th:TH_ATOMIC_RETURN scope:SCOPE_DEV
	s_branch .LBB0_6
.LBB0_32:                               ;   in Loop: Header=BB0_34 Depth=2
	s_wait_xcnt 0x0
	s_or_b32 exec_lo, exec_lo, s18
.LBB0_33:                               ;   in Loop: Header=BB0_34 Depth=2
	s_abs_i32 s18, s23
	v_dual_mov_b32 v10, v17 :: v_dual_mov_b32 v9, v16
	s_mul_u64 s[24:25], s[18:19], s[20:21]
	s_ashr_i32 s24, s23, 31
	s_mul_i32 s26, s25, s22
	s_xor_b32 s24, s24, s13
	s_sub_co_i32 s18, s18, s26
	s_add_co_i32 s26, s25, 1
	s_sub_co_i32 s27, s18, s22
	s_cmp_ge_u32 s18, s22
	v_dual_mov_b32 v8, v15 :: v_dual_mov_b32 v7, v14
	s_cselect_b32 s25, s26, s25
	s_cselect_b32 s18, s27, s18
	s_add_co_i32 s26, s25, 1
	s_cmp_ge_u32 s18, s22
	s_mul_i32 s23, s23, s12
	s_cselect_b32 s18, s26, s25
	s_and_not1_b32 vcc_lo, exec_lo, s5
	s_xor_b32 s18, s18, s24
	s_delay_alu instid0(SALU_CYCLE_1) | instskip(NEXT) | instid1(SALU_CYCLE_1)
	s_sub_co_i32 s18, s18, s24
	s_mul_i32 s18, s18, s15
	s_delay_alu instid0(SALU_CYCLE_1)
	s_sub_co_i32 s23, s23, s18
	s_cbranch_vccz .LBB0_23
.LBB0_34:                               ;   Parent Loop BB0_9 Depth=1
                                        ; =>  This Inner Loop Header: Depth=2
	v_mov_b32_e32 v14, v7
	s_and_saveexec_b32 s5, s3
	s_cbranch_execnz .LBB0_46
; %bb.35:                               ;   in Loop: Header=BB0_34 Depth=2
	s_or_b32 exec_lo, exec_lo, s5
	v_mov_b32_e32 v15, v8
	s_and_saveexec_b32 s5, s0
	s_cbranch_execnz .LBB0_47
.LBB0_36:                               ;   in Loop: Header=BB0_34 Depth=2
	s_or_b32 exec_lo, exec_lo, s5
	v_mov_b32_e32 v16, v9
	s_and_saveexec_b32 s5, s1
	s_cbranch_execnz .LBB0_48
.LBB0_37:                               ;   in Loop: Header=BB0_34 Depth=2
	s_or_b32 exec_lo, exec_lo, s5
	v_mov_b32_e32 v17, v10
	s_and_saveexec_b32 s5, s4
	s_cbranch_execz .LBB0_39
.LBB0_38:                               ;   in Loop: Header=BB0_34 Depth=2
	v_mad_u32 v17, s23, s14, v13
	global_load_b32 v17, v17, s[8:9] scale_offset
.LBB0_39:                               ;   in Loop: Header=BB0_34 Depth=2
	s_wait_xcnt 0x0
	s_or_b32 exec_lo, exec_lo, s5
	s_wait_loadcnt 0x0
	s_barrier_signal -1
	s_barrier_wait -1
	s_and_saveexec_b32 s5, s2
	s_cbranch_execz .LBB0_41
; %bb.40:                               ;   in Loop: Header=BB0_34 Depth=2
	v_mov_b32_e32 v18, s23
	global_atomic_swap_b32 v18, v18, v2, s[10:11] scale_offset th:TH_ATOMIC_RETURN scope:SCOPE_DEV
	s_wait_loadcnt 0x0
	ds_store_b32 v1, v18
.LBB0_41:                               ;   in Loop: Header=BB0_34 Depth=2
	s_wait_xcnt 0x0
	s_or_b32 exec_lo, exec_lo, s5
	s_wait_dscnt 0x0
	s_barrier_signal -1
	s_barrier_wait -1
	ds_load_b32 v18, v1
	s_wait_dscnt 0x0
	v_cmp_ne_u32_e64 s5, 0, v18
	s_and_b32 vcc_lo, exec_lo, s5
	s_cbranch_vccnz .LBB0_33
; %bb.42:                               ;   in Loop: Header=BB0_34 Depth=2
	s_and_saveexec_b32 s18, s3
	s_cbranch_execnz .LBB0_49
; %bb.43:                               ;   in Loop: Header=BB0_34 Depth=2
	s_or_b32 exec_lo, exec_lo, s18
	s_and_saveexec_b32 s18, s0
	s_cbranch_execnz .LBB0_50
.LBB0_44:                               ;   in Loop: Header=BB0_34 Depth=2
	s_or_b32 exec_lo, exec_lo, s18
	s_and_saveexec_b32 s18, s1
	s_cbranch_execnz .LBB0_51
.LBB0_45:                               ;   in Loop: Header=BB0_34 Depth=2
	s_or_b32 exec_lo, exec_lo, s18
	s_and_saveexec_b32 s18, s4
	s_cbranch_execz .LBB0_32
	s_branch .LBB0_52
.LBB0_46:                               ;   in Loop: Header=BB0_34 Depth=2
	v_mad_u32 v14, s23, s14, v0
	global_load_b32 v14, v14, s[8:9] scale_offset
	s_wait_xcnt 0x0
	s_or_b32 exec_lo, exec_lo, s5
	v_mov_b32_e32 v15, v8
	s_and_saveexec_b32 s5, s0
	s_cbranch_execz .LBB0_36
.LBB0_47:                               ;   in Loop: Header=BB0_34 Depth=2
	v_mad_u32 v15, s23, s14, v11
	global_load_b32 v15, v15, s[8:9] scale_offset
	s_wait_xcnt 0x0
	s_or_b32 exec_lo, exec_lo, s5
	v_mov_b32_e32 v16, v9
	s_and_saveexec_b32 s5, s1
	s_cbranch_execz .LBB0_37
.LBB0_48:                               ;   in Loop: Header=BB0_34 Depth=2
	v_mad_u32 v16, s23, s14, v12
	global_load_b32 v16, v16, s[8:9] scale_offset
	s_wait_xcnt 0x0
	s_or_b32 exec_lo, exec_lo, s5
	v_mov_b32_e32 v17, v10
	s_and_saveexec_b32 s5, s4
	s_cbranch_execnz .LBB0_38
	s_branch .LBB0_39
.LBB0_49:                               ;   in Loop: Header=BB0_34 Depth=2
	v_mad_u32 v18, s23, s14, v0
	global_store_b32 v18, v7, s[8:9] scale_offset
	s_wait_xcnt 0x0
	s_or_b32 exec_lo, exec_lo, s18
	s_and_saveexec_b32 s18, s0
	s_cbranch_execz .LBB0_44
.LBB0_50:                               ;   in Loop: Header=BB0_34 Depth=2
	v_mad_u32 v7, s23, s14, v11
	global_store_b32 v7, v8, s[8:9] scale_offset
	s_wait_xcnt 0x0
	s_or_b32 exec_lo, exec_lo, s18
	s_and_saveexec_b32 s18, s1
	s_cbranch_execz .LBB0_45
.LBB0_51:                               ;   in Loop: Header=BB0_34 Depth=2
	v_mad_u32 v7, s23, s14, v12
	global_store_b32 v7, v9, s[8:9] scale_offset
	s_wait_xcnt 0x0
	s_or_b32 exec_lo, exec_lo, s18
	s_and_saveexec_b32 s18, s4
	s_cbranch_execz .LBB0_32
.LBB0_52:                               ;   in Loop: Header=BB0_34 Depth=2
	v_mad_u32 v7, s23, s14, v13
	global_store_b32 v7, v10, s[8:9] scale_offset
	s_branch .LBB0_32
.LBB0_53:
	s_endpgm
	.section	.rodata,"a",@progbits
	.p2align	6, 0x0
	.amdhsa_kernel _Z15PTTWAC_soa_astaiiiPfPiS0_
		.amdhsa_group_segment_fixed_size 8
		.amdhsa_private_segment_fixed_size 0
		.amdhsa_kernarg_size 296
		.amdhsa_user_sgpr_count 2
		.amdhsa_user_sgpr_dispatch_ptr 0
		.amdhsa_user_sgpr_queue_ptr 0
		.amdhsa_user_sgpr_kernarg_segment_ptr 1
		.amdhsa_user_sgpr_dispatch_id 0
		.amdhsa_user_sgpr_kernarg_preload_length 0
		.amdhsa_user_sgpr_kernarg_preload_offset 0
		.amdhsa_user_sgpr_private_segment_size 0
		.amdhsa_wavefront_size32 1
		.amdhsa_uses_dynamic_stack 0
		.amdhsa_enable_private_segment 0
		.amdhsa_system_sgpr_workgroup_id_x 1
		.amdhsa_system_sgpr_workgroup_id_y 0
		.amdhsa_system_sgpr_workgroup_id_z 0
		.amdhsa_system_sgpr_workgroup_info 0
		.amdhsa_system_vgpr_workitem_id 0
		.amdhsa_next_free_vgpr 19
		.amdhsa_next_free_sgpr 28
		.amdhsa_named_barrier_count 0
		.amdhsa_reserve_vcc 1
		.amdhsa_float_round_mode_32 0
		.amdhsa_float_round_mode_16_64 0
		.amdhsa_float_denorm_mode_32 3
		.amdhsa_float_denorm_mode_16_64 3
		.amdhsa_fp16_overflow 0
		.amdhsa_memory_ordered 1
		.amdhsa_forward_progress 1
		.amdhsa_inst_pref_size 13
		.amdhsa_round_robin_scheduling 0
		.amdhsa_exception_fp_ieee_invalid_op 0
		.amdhsa_exception_fp_denorm_src 0
		.amdhsa_exception_fp_ieee_div_zero 0
		.amdhsa_exception_fp_ieee_overflow 0
		.amdhsa_exception_fp_ieee_underflow 0
		.amdhsa_exception_fp_ieee_inexact 0
		.amdhsa_exception_int_div_zero 0
	.end_amdhsa_kernel
	.text
.Lfunc_end0:
	.size	_Z15PTTWAC_soa_astaiiiPfPiS0_, .Lfunc_end0-_Z15PTTWAC_soa_astaiiiPfPiS0_
                                        ; -- End function
	.set _Z15PTTWAC_soa_astaiiiPfPiS0_.num_vgpr, 19
	.set _Z15PTTWAC_soa_astaiiiPfPiS0_.num_agpr, 0
	.set _Z15PTTWAC_soa_astaiiiPfPiS0_.numbered_sgpr, 28
	.set _Z15PTTWAC_soa_astaiiiPfPiS0_.num_named_barrier, 0
	.set _Z15PTTWAC_soa_astaiiiPfPiS0_.private_seg_size, 0
	.set _Z15PTTWAC_soa_astaiiiPfPiS0_.uses_vcc, 1
	.set _Z15PTTWAC_soa_astaiiiPfPiS0_.uses_flat_scratch, 0
	.set _Z15PTTWAC_soa_astaiiiPfPiS0_.has_dyn_sized_stack, 0
	.set _Z15PTTWAC_soa_astaiiiPfPiS0_.has_recursion, 0
	.set _Z15PTTWAC_soa_astaiiiPfPiS0_.has_indirect_call, 0
	.section	.AMDGPU.csdata,"",@progbits
; Kernel info:
; codeLenInByte = 1644
; TotalNumSgprs: 30
; NumVgprs: 19
; ScratchSize: 0
; MemoryBound: 0
; FloatMode: 240
; IeeeMode: 1
; LDSByteSize: 8 bytes/workgroup (compile time only)
; SGPRBlocks: 0
; VGPRBlocks: 1
; NumSGPRsForWavesPerEU: 30
; NumVGPRsForWavesPerEU: 19
; NamedBarCnt: 0
; Occupancy: 16
; WaveLimiterHint : 0
; COMPUTE_PGM_RSRC2:SCRATCH_EN: 0
; COMPUTE_PGM_RSRC2:USER_SGPR: 2
; COMPUTE_PGM_RSRC2:TRAP_HANDLER: 0
; COMPUTE_PGM_RSRC2:TGID_X_EN: 1
; COMPUTE_PGM_RSRC2:TGID_Y_EN: 0
; COMPUTE_PGM_RSRC2:TGID_Z_EN: 0
; COMPUTE_PGM_RSRC2:TIDIG_COMP_CNT: 0
	.text
	.p2alignl 7, 3214868480
	.fill 96, 4, 3214868480
	.section	.AMDGPU.gpr_maximums,"",@progbits
	.set amdgpu.max_num_vgpr, 0
	.set amdgpu.max_num_agpr, 0
	.set amdgpu.max_num_sgpr, 0
	.text
	.type	__hip_cuid_67682e6a30409197,@object ; @__hip_cuid_67682e6a30409197
	.section	.bss,"aw",@nobits
	.globl	__hip_cuid_67682e6a30409197
__hip_cuid_67682e6a30409197:
	.byte	0                               ; 0x0
	.size	__hip_cuid_67682e6a30409197, 1

	.ident	"AMD clang version 22.0.0git (https://github.com/RadeonOpenCompute/llvm-project roc-7.2.4 26084 f58b06dce1f9c15707c5f808fd002e18c2accf7e)"
	.section	".note.GNU-stack","",@progbits
	.addrsig
	.addrsig_sym __hip_cuid_67682e6a30409197
	.amdgpu_metadata
---
amdhsa.kernels:
  - .args:
      - .offset:         0
        .size:           4
        .value_kind:     by_value
      - .offset:         4
        .size:           4
        .value_kind:     by_value
      - .offset:         8
        .size:           4
        .value_kind:     by_value
      - .address_space:  global
        .offset:         16
        .size:           8
        .value_kind:     global_buffer
      - .address_space:  global
        .offset:         24
        .size:           8
        .value_kind:     global_buffer
      - .address_space:  global
        .offset:         32
        .size:           8
        .value_kind:     global_buffer
      - .offset:         40
        .size:           4
        .value_kind:     hidden_block_count_x
      - .offset:         44
        .size:           4
        .value_kind:     hidden_block_count_y
      - .offset:         48
        .size:           4
        .value_kind:     hidden_block_count_z
      - .offset:         52
        .size:           2
        .value_kind:     hidden_group_size_x
      - .offset:         54
        .size:           2
        .value_kind:     hidden_group_size_y
      - .offset:         56
        .size:           2
        .value_kind:     hidden_group_size_z
      - .offset:         58
        .size:           2
        .value_kind:     hidden_remainder_x
      - .offset:         60
        .size:           2
        .value_kind:     hidden_remainder_y
      - .offset:         62
        .size:           2
        .value_kind:     hidden_remainder_z
      - .offset:         80
        .size:           8
        .value_kind:     hidden_global_offset_x
      - .offset:         88
        .size:           8
        .value_kind:     hidden_global_offset_y
      - .offset:         96
        .size:           8
        .value_kind:     hidden_global_offset_z
      - .offset:         104
        .size:           2
        .value_kind:     hidden_grid_dims
    .group_segment_fixed_size: 8
    .kernarg_segment_align: 8
    .kernarg_segment_size: 296
    .language:       OpenCL C
    .language_version:
      - 2
      - 0
    .max_flat_workgroup_size: 1024
    .name:           _Z15PTTWAC_soa_astaiiiPfPiS0_
    .private_segment_fixed_size: 0
    .sgpr_count:     30
    .sgpr_spill_count: 0
    .symbol:         _Z15PTTWAC_soa_astaiiiPfPiS0_.kd
    .uniform_work_group_size: 1
    .uses_dynamic_stack: false
    .vgpr_count:     19
    .vgpr_spill_count: 0
    .wavefront_size: 32
amdhsa.target:   amdgcn-amd-amdhsa--gfx1250
amdhsa.version:
  - 1
  - 2
...

	.end_amdgpu_metadata
